;; amdgpu-corpus repo=ROCm/rocFFT kind=compiled arch=gfx950 opt=O3
	.text
	.amdgcn_target "amdgcn-amd-amdhsa--gfx950"
	.amdhsa_code_object_version 6
	.protected	fft_rtc_back_len143_factors_13_11_wgs_182_tpt_13_sp_ip_CI_unitstride_sbrr_dirReg ; -- Begin function fft_rtc_back_len143_factors_13_11_wgs_182_tpt_13_sp_ip_CI_unitstride_sbrr_dirReg
	.globl	fft_rtc_back_len143_factors_13_11_wgs_182_tpt_13_sp_ip_CI_unitstride_sbrr_dirReg
	.p2align	8
	.type	fft_rtc_back_len143_factors_13_11_wgs_182_tpt_13_sp_ip_CI_unitstride_sbrr_dirReg,@function
fft_rtc_back_len143_factors_13_11_wgs_182_tpt_13_sp_ip_CI_unitstride_sbrr_dirReg: ; @fft_rtc_back_len143_factors_13_11_wgs_182_tpt_13_sp_ip_CI_unitstride_sbrr_dirReg
; %bb.0:
	s_load_dwordx2 s[8:9], s[0:1], 0x50
	s_load_dwordx4 s[4:7], s[0:1], 0x0
	s_load_dwordx2 s[10:11], s[0:1], 0x18
	v_mul_u32_u24_e32 v1, 0x13b2, v0
	v_lshrrev_b32_e32 v2, 16, v1
	v_mad_u64_u32 v[8:9], s[2:3], s2, 14, v[2:3]
	v_mov_b32_e32 v4, 0
	v_mov_b32_e32 v9, v4
	s_waitcnt lgkmcnt(0)
	v_cmp_lt_u64_e64 s[2:3], s[6:7], 2
	s_and_b64 vcc, exec, s[2:3]
	v_mov_b64_e32 v[2:3], 0
	v_mov_b64_e32 v[10:11], v[8:9]
	s_cbranch_vccnz .LBB0_8
; %bb.1:
	s_load_dwordx2 s[2:3], s[0:1], 0x10
	s_add_u32 s12, s10, 8
	s_addc_u32 s13, s11, 0
	s_mov_b64 s[14:15], 1
	v_mov_b64_e32 v[2:3], 0
	s_waitcnt lgkmcnt(0)
	s_add_u32 s16, s2, 8
	s_addc_u32 s17, s3, 0
	v_mov_b64_e32 v[6:7], v[8:9]
.LBB0_2:                                ; =>This Inner Loop Header: Depth=1
	s_load_dwordx2 s[18:19], s[16:17], 0x0
                                        ; implicit-def: $vgpr10_vgpr11
	s_waitcnt lgkmcnt(0)
	v_or_b32_e32 v5, s19, v7
	v_cmp_ne_u64_e32 vcc, 0, v[4:5]
	s_and_saveexec_b64 s[2:3], vcc
	s_xor_b64 s[20:21], exec, s[2:3]
	s_cbranch_execz .LBB0_4
; %bb.3:                                ;   in Loop: Header=BB0_2 Depth=1
	v_cvt_f32_u32_e32 v1, s18
	v_cvt_f32_u32_e32 v5, s19
	s_sub_u32 s2, 0, s18
	s_subb_u32 s3, 0, s19
	v_fmac_f32_e32 v1, 0x4f800000, v5
	v_rcp_f32_e32 v1, v1
	s_nop 0
	v_mul_f32_e32 v1, 0x5f7ffffc, v1
	v_mul_f32_e32 v5, 0x2f800000, v1
	v_trunc_f32_e32 v5, v5
	v_fmac_f32_e32 v1, 0xcf800000, v5
	v_cvt_u32_f32_e32 v5, v5
	v_cvt_u32_f32_e32 v1, v1
	v_mul_lo_u32 v9, s2, v5
	v_mul_hi_u32 v10, s2, v1
	v_mul_lo_u32 v11, s3, v1
	v_add_u32_e32 v9, v10, v9
	v_mul_lo_u32 v14, s2, v1
	v_add_u32_e32 v9, v9, v11
	v_mul_hi_u32 v10, v1, v14
	v_mul_hi_u32 v13, v1, v9
	v_mul_lo_u32 v12, v1, v9
	v_mov_b32_e32 v11, v4
	v_lshl_add_u64 v[10:11], v[10:11], 0, v[12:13]
	v_mul_hi_u32 v13, v5, v14
	v_mul_lo_u32 v14, v5, v14
	v_add_co_u32_e32 v10, vcc, v10, v14
	v_mul_hi_u32 v12, v5, v9
	s_nop 0
	v_addc_co_u32_e32 v10, vcc, v11, v13, vcc
	v_mov_b32_e32 v11, v4
	s_nop 0
	v_addc_co_u32_e32 v13, vcc, 0, v12, vcc
	v_mul_lo_u32 v12, v5, v9
	v_lshl_add_u64 v[10:11], v[10:11], 0, v[12:13]
	v_add_co_u32_e32 v1, vcc, v1, v10
	v_mul_hi_u32 v10, s2, v1
	s_nop 0
	v_addc_co_u32_e32 v5, vcc, v5, v11, vcc
	v_mul_lo_u32 v9, s2, v5
	v_add_u32_e32 v9, v10, v9
	v_mul_lo_u32 v10, s3, v1
	v_add_u32_e32 v9, v9, v10
	v_mul_lo_u32 v12, s2, v1
	v_mul_hi_u32 v15, v5, v12
	v_mul_lo_u32 v16, v5, v12
	v_mul_hi_u32 v11, v1, v9
	;; [unrolled: 2-line block ×3, first 2 shown]
	v_mov_b32_e32 v13, v4
	v_lshl_add_u64 v[10:11], v[12:13], 0, v[10:11]
	v_add_co_u32_e32 v10, vcc, v10, v16
	v_mul_hi_u32 v14, v5, v9
	s_nop 0
	v_addc_co_u32_e32 v10, vcc, v11, v15, vcc
	v_mul_lo_u32 v12, v5, v9
	s_nop 0
	v_addc_co_u32_e32 v13, vcc, 0, v14, vcc
	v_mov_b32_e32 v11, v4
	v_lshl_add_u64 v[10:11], v[10:11], 0, v[12:13]
	v_add_co_u32_e32 v1, vcc, v1, v10
	v_mul_hi_u32 v12, v6, v1
	s_nop 0
	v_addc_co_u32_e32 v5, vcc, v5, v11, vcc
	v_mad_u64_u32 v[10:11], s[2:3], v6, v5, 0
	v_mov_b32_e32 v13, v4
	v_lshl_add_u64 v[10:11], v[12:13], 0, v[10:11]
	v_mad_u64_u32 v[14:15], s[2:3], v7, v1, 0
	v_add_co_u32_e32 v1, vcc, v10, v14
	v_mad_u64_u32 v[12:13], s[2:3], v7, v5, 0
	s_nop 0
	v_addc_co_u32_e32 v10, vcc, v11, v15, vcc
	v_mov_b32_e32 v11, v4
	s_nop 0
	v_addc_co_u32_e32 v13, vcc, 0, v13, vcc
	v_lshl_add_u64 v[10:11], v[10:11], 0, v[12:13]
	v_mul_lo_u32 v1, s19, v10
	v_mul_lo_u32 v5, s18, v11
	v_mad_u64_u32 v[12:13], s[2:3], s18, v10, 0
	v_add3_u32 v1, v13, v5, v1
	v_sub_u32_e32 v5, v7, v1
	v_mov_b32_e32 v9, s19
	v_sub_co_u32_e32 v16, vcc, v6, v12
	v_lshl_add_u64 v[14:15], v[10:11], 0, 1
	s_nop 0
	v_subb_co_u32_e64 v5, s[2:3], v5, v9, vcc
	v_subrev_co_u32_e64 v9, s[2:3], s18, v16
	v_subb_co_u32_e32 v1, vcc, v7, v1, vcc
	s_nop 0
	v_subbrev_co_u32_e64 v5, s[2:3], 0, v5, s[2:3]
	v_cmp_le_u32_e64 s[2:3], s19, v5
	v_cmp_le_u32_e32 vcc, s19, v1
	s_nop 0
	v_cndmask_b32_e64 v12, 0, -1, s[2:3]
	v_cmp_le_u32_e64 s[2:3], s18, v9
	s_nop 1
	v_cndmask_b32_e64 v9, 0, -1, s[2:3]
	v_cmp_eq_u32_e64 s[2:3], s19, v5
	s_nop 1
	v_cndmask_b32_e64 v5, v12, v9, s[2:3]
	v_lshl_add_u64 v[12:13], v[10:11], 0, 2
	v_cmp_ne_u32_e64 s[2:3], 0, v5
	v_cndmask_b32_e64 v9, 0, -1, vcc
	v_cmp_le_u32_e32 vcc, s18, v16
	v_cndmask_b32_e64 v5, v15, v13, s[2:3]
	s_nop 0
	v_cndmask_b32_e64 v13, 0, -1, vcc
	v_cmp_eq_u32_e32 vcc, s19, v1
	s_nop 1
	v_cndmask_b32_e32 v1, v9, v13, vcc
	v_cmp_ne_u32_e32 vcc, 0, v1
	v_cndmask_b32_e64 v1, v14, v12, s[2:3]
	s_nop 0
	v_cndmask_b32_e32 v11, v11, v5, vcc
	v_cndmask_b32_e32 v10, v10, v1, vcc
.LBB0_4:                                ;   in Loop: Header=BB0_2 Depth=1
	s_andn2_saveexec_b64 s[2:3], s[20:21]
	s_cbranch_execz .LBB0_6
; %bb.5:                                ;   in Loop: Header=BB0_2 Depth=1
	v_cvt_f32_u32_e32 v1, s18
	s_sub_i32 s20, 0, s18
	v_mov_b32_e32 v11, v4
	v_rcp_iflag_f32_e32 v1, v1
	s_nop 0
	v_mul_f32_e32 v1, 0x4f7ffffe, v1
	v_cvt_u32_f32_e32 v1, v1
	v_mul_lo_u32 v5, s20, v1
	v_mul_hi_u32 v5, v1, v5
	v_add_u32_e32 v1, v1, v5
	v_mul_hi_u32 v1, v6, v1
	v_mul_lo_u32 v5, v1, s18
	v_sub_u32_e32 v5, v6, v5
	v_add_u32_e32 v9, 1, v1
	v_subrev_u32_e32 v10, s18, v5
	v_cmp_le_u32_e32 vcc, s18, v5
	s_nop 1
	v_cndmask_b32_e32 v5, v5, v10, vcc
	v_cndmask_b32_e32 v1, v1, v9, vcc
	v_add_u32_e32 v9, 1, v1
	v_cmp_le_u32_e32 vcc, s18, v5
	s_nop 1
	v_cndmask_b32_e32 v10, v1, v9, vcc
.LBB0_6:                                ;   in Loop: Header=BB0_2 Depth=1
	s_or_b64 exec, exec, s[2:3]
	v_mad_u64_u32 v[12:13], s[2:3], v10, s18, 0
	s_load_dwordx2 s[2:3], s[12:13], 0x0
	v_mul_lo_u32 v1, v11, s18
	v_mul_lo_u32 v5, v10, s19
	v_add3_u32 v1, v13, v5, v1
	v_sub_co_u32_e32 v5, vcc, v6, v12
	s_add_u32 s14, s14, 1
	s_nop 0
	v_subb_co_u32_e32 v1, vcc, v7, v1, vcc
	s_addc_u32 s15, s15, 0
	s_waitcnt lgkmcnt(0)
	v_mul_lo_u32 v1, s2, v1
	v_mul_lo_u32 v6, s3, v5
	v_mad_u64_u32 v[2:3], s[2:3], s2, v5, v[2:3]
	s_add_u32 s12, s12, 8
	v_add3_u32 v3, v6, v3, v1
	s_addc_u32 s13, s13, 0
	v_mov_b64_e32 v[6:7], s[6:7]
	s_add_u32 s16, s16, 8
	v_cmp_ge_u64_e32 vcc, s[14:15], v[6:7]
	s_addc_u32 s17, s17, 0
	s_cbranch_vccnz .LBB0_8
; %bb.7:                                ;   in Loop: Header=BB0_2 Depth=1
	v_mov_b64_e32 v[6:7], v[10:11]
	s_branch .LBB0_2
.LBB0_8:
	s_lshl_b64 s[2:3], s[6:7], 3
	s_add_u32 s2, s10, s2
	s_addc_u32 s3, s11, s3
	s_load_dwordx2 s[6:7], s[2:3], 0x0
	s_load_dwordx2 s[10:11], s[0:1], 0x20
	v_mov_b32_e32 v6, 0
	v_mov_b32_e32 v7, 0
                                        ; implicit-def: $vgpr12
                                        ; implicit-def: $vgpr14
                                        ; implicit-def: $vgpr16
                                        ; implicit-def: $vgpr18
                                        ; implicit-def: $vgpr20
                                        ; implicit-def: $vgpr22
                                        ; implicit-def: $vgpr24
                                        ; implicit-def: $vgpr26
                                        ; implicit-def: $vgpr28
                                        ; implicit-def: $vgpr30
                                        ; implicit-def: $vgpr32
	s_waitcnt lgkmcnt(0)
	v_mad_u64_u32 v[2:3], s[0:1], s6, v10, v[2:3]
	v_mul_lo_u32 v1, s6, v11
	v_mul_lo_u32 v4, s7, v10
	s_mov_b32 s0, 0x13b13b14
	v_add3_u32 v3, v4, v3, v1
	v_mul_hi_u32 v1, v0, s0
	v_mul_u32_u24_e32 v1, 13, v1
	v_cmp_gt_u64_e32 vcc, s[10:11], v[10:11]
	v_sub_u32_e32 v0, v0, v1
	v_mov_b32_e32 v4, 0
                                        ; implicit-def: $vgpr10
	s_and_saveexec_b64 s[2:3], vcc
	s_cbranch_execz .LBB0_12
; %bb.9:
	v_cmp_gt_u32_e64 s[0:1], 11, v0
	v_mov_b32_e32 v7, 0
	v_mov_b32_e32 v6, 0
                                        ; implicit-def: $vgpr33
                                        ; implicit-def: $vgpr31
                                        ; implicit-def: $vgpr29
                                        ; implicit-def: $vgpr27
                                        ; implicit-def: $vgpr25
                                        ; implicit-def: $vgpr23
                                        ; implicit-def: $vgpr21
                                        ; implicit-def: $vgpr19
                                        ; implicit-def: $vgpr17
                                        ; implicit-def: $vgpr15
                                        ; implicit-def: $vgpr13
                                        ; implicit-def: $vgpr11
	s_and_saveexec_b64 s[6:7], s[0:1]
	s_cbranch_execz .LBB0_11
; %bb.10:
	v_mov_b32_e32 v1, 0
	v_lshl_add_u64 v[4:5], v[2:3], 3, s[8:9]
	v_lshl_add_u64 v[4:5], v[0:1], 3, v[4:5]
	global_load_dwordx2 v[6:7], v[4:5], off
	global_load_dwordx2 v[32:33], v[4:5], off offset:88
	global_load_dwordx2 v[30:31], v[4:5], off offset:176
	;; [unrolled: 1-line block ×12, first 2 shown]
.LBB0_11:
	s_or_b64 exec, exec, s[6:7]
	v_mov_b32_e32 v4, v0
.LBB0_12:
	s_or_b64 exec, exec, s[2:3]
	v_lshrrev_b32_e32 v1, 1, v8
	s_mov_b32 s0, 0x92492493
	v_mul_hi_u32 v1, v1, s0
	v_lshrrev_b32_e32 v1, 2, v1
	v_mul_lo_u32 v1, v1, 14
	v_sub_u32_e32 v1, v8, v1
	v_mul_u32_u24_e32 v1, 0x8f, v1
	v_cmp_gt_u32_e64 s[0:1], 11, v0
	v_lshlrev_b32_e32 v1, 3, v1
	s_and_saveexec_b64 s[2:3], s[0:1]
	s_cbranch_execz .LBB0_14
; %bb.13:
	s_waitcnt vmcnt(11)
	v_pk_add_f32 v[8:9], v[6:7], v[32:33]
	s_mov_b32 s0, 0x3f62ad3f
	s_waitcnt vmcnt(10)
	v_pk_add_f32 v[8:9], v[8:9], v[30:31]
	s_waitcnt vmcnt(0)
	v_pk_add_f32 v[74:75], v[32:33], v[10:11]
	v_pk_add_f32 v[8:9], v[8:9], v[20:21]
	v_pk_add_f32 v[34:35], v[32:33], v[10:11] neg_lo:[0,1] neg_hi:[0,1]
	v_pk_add_f32 v[8:9], v[8:9], v[22:23]
	s_mov_b32 s1, 0xbeedf032
	v_pk_add_f32 v[8:9], v[8:9], v[24:25]
	s_mov_b32 s6, s1
	;; [unrolled: 2-line block ×3, first 2 shown]
	v_pk_add_f32 v[8:9], v[8:9], v[28:29]
	v_pk_add_f32 v[68:69], v[30:31], v[12:13]
	;; [unrolled: 1-line block ×3, first 2 shown]
	v_pk_add_f32 v[36:37], v[30:31], v[12:13] neg_lo:[0,1] neg_hi:[0,1]
	v_pk_add_f32 v[8:9], v[16:17], v[8:9]
	v_pk_add_f32 v[66:67], v[20:21], v[14:15]
	;; [unrolled: 1-line block ×3, first 2 shown]
	v_pk_add_f32 v[38:39], v[20:21], v[14:15] neg_lo:[0,1] neg_hi:[0,1]
	v_pk_add_f32 v[8:9], v[12:13], v[8:9]
	v_pk_add_f32 v[58:59], v[24:25], v[18:19]
	;; [unrolled: 1-line block ×3, first 2 shown]
	v_mov_b32_e32 v8, v74
	v_mov_b32_e32 v74, v35
	;; [unrolled: 1-line block ×3, first 2 shown]
	v_pk_mul_f32 v[12:13], v[74:75], s[6:7]
	s_mov_b32 s6, 0x3f116cb1
	v_pk_fma_f32 v[10:11], v[8:9], s[0:1], v[12:13]
	v_pk_fma_f32 v[14:15], v[8:9], s[0:1], v[12:13] neg_lo:[1,0,0] neg_hi:[1,0,0]
	s_mov_b32 s7, 0xbf52af12
	v_mov_b32_e32 v14, v10
	v_pk_add_f32 v[20:21], v[6:7], v[14:15]
	v_mov_b32_e32 v14, v68
	v_mov_b32_e32 v68, v37
	s_mov_b32 s28, s7
	s_mov_b32 s29, s6
	v_pk_add_f32 v[42:43], v[24:25], v[18:19] neg_lo:[0,1] neg_hi:[0,1]
	v_mov_b32_e32 v15, v36
	v_pk_mul_f32 v[18:19], v[68:69], s[28:29]
	v_pk_add_f32 v[60:61], v[22:23], v[16:17]
	v_pk_add_f32 v[40:41], v[22:23], v[16:17] neg_lo:[0,1] neg_hi:[0,1]
	v_pk_fma_f32 v[16:17], v[14:15], s[6:7], v[18:19]
	v_pk_fma_f32 v[22:23], v[14:15], s[6:7], v[18:19] neg_lo:[1,0,0] neg_hi:[1,0,0]
	s_mov_b32 s10, 0x3df6dbef
	v_mov_b32_e32 v22, v16
	s_mov_b32 s11, 0xbf7e222b
	v_pk_add_f32 v[46:47], v[26:27], v[28:29]
	v_pk_add_f32 v[44:45], v[26:27], v[28:29] neg_lo:[0,1] neg_hi:[0,1]
	v_pk_add_f32 v[26:27], v[20:21], v[22:23]
	v_mov_b32_e32 v20, v66
	v_mov_b32_e32 v66, v39
	s_mov_b32 s38, s11
	s_mov_b32 s39, s10
	v_mov_b32_e32 v21, v38
	v_pk_mul_f32 v[24:25], v[66:67], s[38:39]
	s_mov_b32 s12, 0xbeb58ec6
	v_pk_fma_f32 v[22:23], v[20:21], s[10:11], v[24:25]
	v_pk_fma_f32 v[28:29], v[20:21], s[10:11], v[24:25] neg_lo:[1,0,0] neg_hi:[1,0,0]
	s_mov_b32 s13, 0xbf6f5d39
	v_mov_b32_e32 v28, v22
	v_pk_add_f32 v[32:33], v[26:27], v[28:29]
	v_mov_b32_e32 v26, v60
	v_mov_b32_e32 v60, v41
	s_mov_b32 s24, s13
	s_mov_b32 s25, s12
	v_mov_b32_e32 v27, v40
	v_pk_mul_f32 v[30:31], v[60:61], s[24:25]
	s_mov_b32 s14, 0xbf3f9e67
	v_pk_fma_f32 v[28:29], v[26:27], s[12:13], v[30:31]
	v_pk_fma_f32 v[34:35], v[26:27], s[12:13], v[30:31] neg_lo:[1,0,0] neg_hi:[1,0,0]
	s_mov_b32 s15, 0xbf29c268
	v_mov_b32_e32 v34, v28
	;; [unrolled: 12-line block ×3, first 2 shown]
	v_pk_add_f32 v[50:51], v[38:39], v[40:41]
	v_mov_b32_e32 v38, v46
	v_mov_b32_e32 v46, v45
	s_mov_b32 s34, s17
	s_mov_b32 s35, s16
	v_mov_b32_e32 v39, v44
	v_pk_mul_f32 v[42:43], v[46:47], s[34:35]
	v_mul_u32_u24_e32 v5, 0x68, v0
	v_pk_fma_f32 v[40:41], v[38:39], s[16:17], v[42:43]
	v_pk_fma_f32 v[44:45], v[38:39], s[16:17], v[42:43] neg_lo:[1,0,0] neg_hi:[1,0,0]
	v_add3_u32 v5, 0, v5, v1
	v_mov_b32_e32 v44, v40
	v_pk_add_f32 v[44:45], v[50:51], v[44:45]
	ds_write2_b64 v5, v[48:49], v[44:45] offset1:1
	v_pk_mul_f32 v[48:49], v[74:75], s[28:29]
	v_pk_mul_f32 v[52:53], v[68:69], s[24:25]
	v_pk_fma_f32 v[44:45], v[8:9], s[6:7], v[48:49]
	v_pk_fma_f32 v[50:51], v[8:9], s[6:7], v[48:49] neg_lo:[1,0,0] neg_hi:[1,0,0]
	v_pk_fma_f32 v[56:57], v[14:15], s[12:13], v[52:53] neg_lo:[1,0,0] neg_hi:[1,0,0]
	v_mov_b32_e32 v50, v44
	v_pk_add_f32 v[54:55], v[6:7], v[50:51]
	v_pk_fma_f32 v[50:51], v[14:15], s[12:13], v[52:53]
	s_mov_b32 s19, 0x3f29c268
	v_mov_b32_e32 v56, v50
	v_pk_add_f32 v[62:63], v[54:55], v[56:57]
	v_pk_mul_f32 v[56:57], v[66:67], s[34:35]
	s_mov_b32 s40, s19
	v_pk_fma_f32 v[54:55], v[20:21], s[16:17], v[56:57]
	v_pk_fma_f32 v[64:65], v[20:21], s[16:17], v[56:57] neg_lo:[1,0,0] neg_hi:[1,0,0]
	s_mov_b32 s41, s14
	v_mov_b32_e32 v64, v54
	v_pk_add_f32 v[70:71], v[62:63], v[64:65]
	s_mov_b32 s18, s14
	v_pk_mul_f32 v[64:65], v[60:61], s[40:41]
	s_mov_b32 s21, 0x3f7e222b
	v_pk_fma_f32 v[62:63], v[26:27], s[18:19], v[64:65]
	v_pk_fma_f32 v[72:73], v[26:27], s[18:19], v[64:65] neg_lo:[1,0,0] neg_hi:[1,0,0]
	s_mov_b32 s36, s21
	v_mov_b32_e32 v72, v62
	s_mov_b32 s37, s10
	v_pk_add_f32 v[76:77], v[70:71], v[72:73]
	s_mov_b32 s20, s10
	v_pk_mul_f32 v[72:73], v[58:59], s[36:37]
	s_mov_b32 s23, 0x3eedf032
	v_pk_fma_f32 v[70:71], v[32:33], s[20:21], v[72:73]
	v_pk_fma_f32 v[78:79], v[32:33], s[20:21], v[72:73] neg_lo:[1,0,0] neg_hi:[1,0,0]
	s_mov_b32 s42, s23
	v_mov_b32_e32 v78, v70
	s_mov_b32 s43, s0
	v_pk_add_f32 v[80:81], v[76:77], v[78:79]
	s_mov_b32 s22, s0
	v_pk_mul_f32 v[78:79], v[46:47], s[42:43]
	v_pk_mul_f32 v[86:87], v[68:69], s[34:35]
	v_pk_fma_f32 v[76:77], v[38:39], s[22:23], v[78:79]
	v_pk_fma_f32 v[82:83], v[38:39], s[22:23], v[78:79] neg_lo:[1,0,0] neg_hi:[1,0,0]
	v_pk_fma_f32 v[90:91], v[14:15], s[16:17], v[86:87] neg_lo:[1,0,0] neg_hi:[1,0,0]
	v_mov_b32_e32 v82, v76
	v_pk_add_f32 v[98:99], v[80:81], v[82:83]
	v_pk_mul_f32 v[82:83], v[74:75], s[38:39]
	s_mov_b32 s27, 0x3f6f5d39
	v_pk_fma_f32 v[80:81], v[8:9], s[10:11], v[82:83]
	v_pk_fma_f32 v[84:85], v[8:9], s[10:11], v[82:83] neg_lo:[1,0,0] neg_hi:[1,0,0]
	s_mov_b32 s44, s27
	v_mov_b32_e32 v84, v80
	v_pk_add_f32 v[88:89], v[6:7], v[84:85]
	v_pk_fma_f32 v[84:85], v[14:15], s[16:17], v[86:87]
	s_mov_b32 s45, s12
	v_mov_b32_e32 v90, v84
	v_pk_add_f32 v[92:93], v[88:89], v[90:91]
	s_mov_b32 s26, s12
	v_pk_mul_f32 v[90:91], v[66:67], s[44:45]
	v_pk_mul_f32 v[102:103], v[58:59], s[28:29]
	v_pk_fma_f32 v[88:89], v[20:21], s[26:27], v[90:91]
	v_pk_fma_f32 v[94:95], v[20:21], s[26:27], v[90:91] neg_lo:[1,0,0] neg_hi:[1,0,0]
	v_pk_fma_f32 v[104:105], v[32:33], s[6:7], v[102:103] neg_lo:[1,0,0] neg_hi:[1,0,0]
	v_mov_b32_e32 v94, v88
	v_pk_add_f32 v[96:97], v[92:93], v[94:95]
	v_pk_mul_f32 v[94:95], v[60:61], s[42:43]
	v_pk_mul_f32 v[110:111], v[68:69], s[40:41]
	v_pk_fma_f32 v[92:93], v[26:27], s[22:23], v[94:95]
	v_pk_fma_f32 v[100:101], v[26:27], s[22:23], v[94:95] neg_lo:[1,0,0] neg_hi:[1,0,0]
	v_pk_fma_f32 v[112:113], v[14:15], s[18:19], v[110:111]
	v_mov_b32_e32 v100, v92
	v_pk_add_f32 v[100:101], v[96:97], v[100:101]
	v_pk_fma_f32 v[96:97], v[32:33], s[6:7], v[102:103]
	v_pk_fma_f32 v[114:115], v[14:15], s[18:19], v[110:111] neg_lo:[1,0,0] neg_hi:[1,0,0]
	v_mov_b32_e32 v104, v96
	v_pk_add_f32 v[100:101], v[100:101], v[104:105]
	v_pk_mul_f32 v[104:105], v[46:47], s[30:31]
	v_mov_b32_e32 v114, v112
	v_pk_fma_f32 v[106:107], v[38:39], s[14:15], v[104:105]
	v_pk_fma_f32 v[108:109], v[38:39], s[14:15], v[104:105] neg_lo:[1,0,0] neg_hi:[1,0,0]
	s_mov_b32 s45, s16
	v_mov_b32_e32 v108, v106
	v_pk_add_f32 v[100:101], v[100:101], v[108:109]
	ds_write2_b64 v5, v[98:99], v[100:101] offset0:2 offset1:3
	v_pk_mul_f32 v[98:99], v[74:75], s[24:25]
	s_mov_b32 s41, 0x3f52af12
	v_pk_fma_f32 v[100:101], v[8:9], s[12:13], v[98:99]
	v_pk_fma_f32 v[108:109], v[8:9], s[12:13], v[98:99] neg_lo:[1,0,0] neg_hi:[1,0,0]
	s_mov_b32 s46, s41
	v_mov_b32_e32 v108, v100
	v_pk_add_f32 v[108:109], v[6:7], v[108:109]
	s_mov_b32 s47, s6
	v_pk_add_f32 v[108:109], v[108:109], v[114:115]
	v_pk_mul_f32 v[114:115], v[66:67], s[42:43]
	s_mov_b32 s40, s6
	v_pk_fma_f32 v[116:117], v[20:21], s[22:23], v[114:115]
	v_pk_fma_f32 v[118:119], v[20:21], s[22:23], v[114:115] neg_lo:[1,0,0] neg_hi:[1,0,0]
	v_pk_mul_f32 v[136:137], v[68:69], s[36:37]
	v_mov_b32_e32 v118, v116
	v_pk_add_f32 v[108:109], v[108:109], v[118:119]
	v_pk_mul_f32 v[118:119], v[60:61], s[38:39]
	s_mov_b32 s39, 0x3e750f2a
	v_pk_fma_f32 v[120:121], v[26:27], s[10:11], v[118:119]
	v_pk_fma_f32 v[122:123], v[26:27], s[10:11], v[118:119] neg_lo:[1,0,0] neg_hi:[1,0,0]
	s_mov_b32 s44, s39
	v_mov_b32_e32 v122, v120
	v_pk_add_f32 v[108:109], v[108:109], v[122:123]
	s_mov_b32 s38, s16
	v_pk_mul_f32 v[122:123], v[58:59], s[44:45]
	v_pk_fma_f32 v[138:139], v[14:15], s[20:21], v[136:137]
	v_pk_fma_f32 v[124:125], v[32:33], s[38:39], v[122:123]
	v_pk_fma_f32 v[126:127], v[32:33], s[38:39], v[122:123] neg_lo:[1,0,0] neg_hi:[1,0,0]
	v_pk_fma_f32 v[140:141], v[14:15], s[20:21], v[136:137] neg_lo:[1,0,0] neg_hi:[1,0,0]
	v_mov_b32_e32 v126, v124
	v_pk_add_f32 v[108:109], v[108:109], v[126:127]
	v_pk_mul_f32 v[126:127], v[46:47], s[46:47]
	v_mov_b32_e32 v140, v138
	v_pk_fma_f32 v[128:129], v[38:39], s[40:41], v[126:127]
	v_pk_fma_f32 v[130:131], v[38:39], s[40:41], v[126:127] neg_lo:[1,0,0] neg_hi:[1,0,0]
	v_pk_mul_f32 v[68:69], v[68:69], s[42:43]
	v_mov_b32_e32 v130, v128
	v_pk_add_f32 v[108:109], v[108:109], v[130:131]
	v_pk_mul_f32 v[130:131], v[74:75], s[30:31]
	v_pk_mul_f32 v[74:75], v[74:75], s[34:35]
	v_pk_fma_f32 v[132:133], v[8:9], s[14:15], v[130:131]
	v_pk_fma_f32 v[134:135], v[8:9], s[14:15], v[130:131] neg_lo:[1,0,0] neg_hi:[1,0,0]
	v_pk_fma_f32 v[158:159], v[14:15], s[22:23], v[68:69] neg_lo:[1,0,0] neg_hi:[1,0,0]
	v_mov_b32_e32 v134, v132
	v_pk_add_f32 v[134:135], v[6:7], v[134:135]
	v_pk_fma_f32 v[48:49], v[8:9], s[6:7], v[48:49] neg_lo:[0,0,1] neg_hi:[0,0,1]
	v_pk_add_f32 v[134:135], v[134:135], v[140:141]
	v_pk_mul_f32 v[140:141], v[66:67], s[28:29]
	v_pk_mul_f32 v[66:67], v[66:67], s[30:31]
	v_pk_fma_f32 v[142:143], v[20:21], s[6:7], v[140:141]
	v_pk_fma_f32 v[144:145], v[20:21], s[6:7], v[140:141] neg_lo:[1,0,0] neg_hi:[1,0,0]
	v_pk_fma_f32 v[160:161], v[20:21], s[14:15], v[66:67] neg_lo:[1,0,0] neg_hi:[1,0,0]
	v_mov_b32_e32 v144, v142
	v_pk_add_f32 v[134:135], v[134:135], v[144:145]
	v_pk_mul_f32 v[144:145], v[60:61], s[44:45]
	v_pk_mul_f32 v[60:61], v[60:61], s[46:47]
	v_pk_fma_f32 v[146:147], v[26:27], s[38:39], v[144:145]
	v_pk_fma_f32 v[148:149], v[26:27], s[38:39], v[144:145] neg_lo:[1,0,0] neg_hi:[1,0,0]
	v_pk_fma_f32 v[162:163], v[26:27], s[40:41], v[60:61] neg_lo:[1,0,0] neg_hi:[1,0,0]
	v_mov_b32_e32 v148, v146
	;; [unrolled: 7-line block ×4, first 2 shown]
	v_pk_add_f32 v[134:135], v[134:135], v[156:157]
	ds_write2_b64 v5, v[108:109], v[134:135] offset0:4 offset1:5
	v_pk_fma_f32 v[108:109], v[8:9], s[16:17], v[74:75]
	v_pk_fma_f32 v[134:135], v[8:9], s[16:17], v[74:75] neg_lo:[1,0,0] neg_hi:[1,0,0]
	v_pk_fma_f32 v[156:157], v[14:15], s[22:23], v[68:69]
	v_mov_b32_e32 v134, v108
	v_pk_add_f32 v[134:135], v[6:7], v[134:135]
	v_mov_b32_e32 v158, v156
	v_pk_add_f32 v[134:135], v[134:135], v[158:159]
	v_pk_fma_f32 v[158:159], v[20:21], s[14:15], v[66:67]
	v_pk_fma_f32 v[74:75], v[8:9], s[16:17], v[74:75] neg_lo:[0,0,1] neg_hi:[0,0,1]
	v_mov_b32_e32 v160, v158
	v_pk_add_f32 v[134:135], v[134:135], v[160:161]
	v_pk_fma_f32 v[160:161], v[26:27], s[40:41], v[60:61]
	v_mov_b32_e32 v75, v109
	v_pk_fma_f32 v[68:69], v[14:15], s[22:23], v[68:69] neg_lo:[0,0,1] neg_hi:[0,0,1]
	v_mov_b32_e32 v162, v160
	v_mov_b32_e32 v69, v157
	v_pk_add_f32 v[74:75], v[6:7], v[74:75]
	v_pk_fma_f32 v[66:67], v[20:21], s[14:15], v[66:67] neg_lo:[0,0,1] neg_hi:[0,0,1]
	v_pk_add_f32 v[134:135], v[134:135], v[162:163]
	v_pk_fma_f32 v[162:163], v[32:33], s[12:13], v[58:59]
	v_pk_add_f32 v[68:69], v[74:75], v[68:69]
	v_mov_b32_e32 v67, v159
	v_pk_fma_f32 v[60:61], v[26:27], s[40:41], v[60:61] neg_lo:[0,0,1] neg_hi:[0,0,1]
	v_mov_b32_e32 v164, v162
	v_pk_add_f32 v[66:67], v[68:69], v[66:67]
	v_mov_b32_e32 v61, v161
	v_pk_fma_f32 v[58:59], v[32:33], s[12:13], v[58:59] neg_lo:[0,0,1] neg_hi:[0,0,1]
	v_pk_add_f32 v[134:135], v[134:135], v[164:165]
	v_pk_fma_f32 v[164:165], v[38:39], s[20:21], v[46:47]
	v_pk_add_f32 v[60:61], v[66:67], v[60:61]
	v_mov_b32_e32 v59, v163
	v_pk_fma_f32 v[46:47], v[38:39], s[20:21], v[46:47] neg_lo:[0,0,1] neg_hi:[0,0,1]
	v_mov_b32_e32 v166, v164
	v_pk_add_f32 v[58:59], v[60:61], v[58:59]
	v_mov_b32_e32 v47, v165
	v_pk_add_f32 v[134:135], v[134:135], v[166:167]
	v_pk_add_f32 v[46:47], v[58:59], v[46:47]
	ds_write2_b64 v5, v[134:135], v[46:47] offset0:6 offset1:7
	v_pk_fma_f32 v[46:47], v[8:9], s[14:15], v[130:131] neg_lo:[0,0,1] neg_hi:[0,0,1]
	v_pk_fma_f32 v[58:59], v[14:15], s[20:21], v[136:137] neg_lo:[0,0,1] neg_hi:[0,0,1]
	v_mov_b32_e32 v47, v133
	v_mov_b32_e32 v59, v139
	v_pk_add_f32 v[46:47], v[6:7], v[46:47]
	v_pk_fma_f32 v[60:61], v[14:15], s[18:19], v[110:111] neg_lo:[0,0,1] neg_hi:[0,0,1]
	v_pk_add_f32 v[46:47], v[46:47], v[58:59]
	v_pk_fma_f32 v[58:59], v[20:21], s[6:7], v[140:141] neg_lo:[0,0,1] neg_hi:[0,0,1]
	v_mov_b32_e32 v61, v113
	v_mov_b32_e32 v59, v143
	v_pk_add_f32 v[46:47], v[46:47], v[58:59]
	v_pk_fma_f32 v[58:59], v[26:27], s[38:39], v[144:145] neg_lo:[0,0,1] neg_hi:[0,0,1]
	v_mov_b32_e32 v49, v45
	v_mov_b32_e32 v59, v147
	v_pk_add_f32 v[46:47], v[46:47], v[58:59]
	v_pk_fma_f32 v[58:59], v[32:33], s[22:23], v[148:149] neg_lo:[0,0,1] neg_hi:[0,0,1]
	v_pk_fma_f32 v[44:45], v[14:15], s[12:13], v[52:53] neg_lo:[0,0,1] neg_hi:[0,0,1]
	v_mov_b32_e32 v59, v151
	v_pk_add_f32 v[46:47], v[46:47], v[58:59]
	v_pk_fma_f32 v[58:59], v[38:39], s[12:13], v[152:153] neg_lo:[0,0,1] neg_hi:[0,0,1]
	v_pk_add_f32 v[48:49], v[6:7], v[48:49]
	v_mov_b32_e32 v59, v155
	v_pk_add_f32 v[46:47], v[46:47], v[58:59]
	v_pk_fma_f32 v[58:59], v[8:9], s[12:13], v[98:99] neg_lo:[0,0,1] neg_hi:[0,0,1]
	v_mov_b32_e32 v45, v51
	v_mov_b32_e32 v59, v101
	v_pk_add_f32 v[58:59], v[6:7], v[58:59]
	v_pk_add_f32 v[44:45], v[48:49], v[44:45]
	;; [unrolled: 1-line block ×3, first 2 shown]
	v_pk_fma_f32 v[60:61], v[20:21], s[22:23], v[114:115] neg_lo:[0,0,1] neg_hi:[0,0,1]
	v_pk_fma_f32 v[48:49], v[20:21], s[16:17], v[56:57] neg_lo:[0,0,1] neg_hi:[0,0,1]
	v_mov_b32_e32 v61, v117
	v_pk_add_f32 v[58:59], v[58:59], v[60:61]
	v_pk_fma_f32 v[60:61], v[26:27], s[10:11], v[118:119] neg_lo:[0,0,1] neg_hi:[0,0,1]
	v_mov_b32_e32 v49, v55
	v_mov_b32_e32 v61, v121
	v_pk_add_f32 v[58:59], v[58:59], v[60:61]
	v_pk_fma_f32 v[60:61], v[32:33], s[38:39], v[122:123] neg_lo:[0,0,1] neg_hi:[0,0,1]
	v_pk_add_f32 v[44:45], v[44:45], v[48:49]
	v_mov_b32_e32 v61, v125
	v_pk_add_f32 v[58:59], v[58:59], v[60:61]
	v_pk_fma_f32 v[60:61], v[38:39], s[40:41], v[126:127] neg_lo:[0,0,1] neg_hi:[0,0,1]
	v_pk_fma_f32 v[48:49], v[26:27], s[18:19], v[64:65] neg_lo:[0,0,1] neg_hi:[0,0,1]
	v_mov_b32_e32 v61, v129
	v_pk_add_f32 v[58:59], v[58:59], v[60:61]
	ds_write2_b64 v5, v[46:47], v[58:59] offset0:8 offset1:9
	v_pk_fma_f32 v[46:47], v[8:9], s[10:11], v[82:83] neg_lo:[0,0,1] neg_hi:[0,0,1]
	v_pk_fma_f32 v[8:9], v[8:9], s[0:1], v[12:13] neg_lo:[0,0,1] neg_hi:[0,0,1]
	v_mov_b32_e32 v47, v81
	v_mov_b32_e32 v9, v11
	v_pk_fma_f32 v[58:59], v[14:15], s[16:17], v[86:87] neg_lo:[0,0,1] neg_hi:[0,0,1]
	v_pk_add_f32 v[46:47], v[6:7], v[46:47]
	v_pk_add_f32 v[6:7], v[6:7], v[8:9]
	v_pk_fma_f32 v[8:9], v[14:15], s[6:7], v[18:19] neg_lo:[0,0,1] neg_hi:[0,0,1]
	v_mov_b32_e32 v59, v85
	v_mov_b32_e32 v9, v17
	v_pk_add_f32 v[46:47], v[46:47], v[58:59]
	v_pk_fma_f32 v[58:59], v[20:21], s[26:27], v[90:91] neg_lo:[0,0,1] neg_hi:[0,0,1]
	v_pk_add_f32 v[6:7], v[6:7], v[8:9]
	v_pk_fma_f32 v[8:9], v[20:21], s[10:11], v[24:25] neg_lo:[0,0,1] neg_hi:[0,0,1]
	v_mov_b32_e32 v59, v89
	v_mov_b32_e32 v9, v23
	v_pk_add_f32 v[46:47], v[46:47], v[58:59]
	v_pk_fma_f32 v[58:59], v[26:27], s[22:23], v[94:95] neg_lo:[0,0,1] neg_hi:[0,0,1]
	v_pk_add_f32 v[6:7], v[6:7], v[8:9]
	v_pk_fma_f32 v[8:9], v[26:27], s[12:13], v[30:31] neg_lo:[0,0,1] neg_hi:[0,0,1]
	v_mov_b32_e32 v59, v93
	v_mov_b32_e32 v49, v63
	;; [unrolled: 1-line block ×3, first 2 shown]
	v_pk_add_f32 v[46:47], v[46:47], v[58:59]
	v_pk_fma_f32 v[58:59], v[32:33], s[6:7], v[102:103] neg_lo:[0,0,1] neg_hi:[0,0,1]
	v_pk_add_f32 v[44:45], v[44:45], v[48:49]
	v_pk_fma_f32 v[48:49], v[32:33], s[20:21], v[72:73] neg_lo:[0,0,1] neg_hi:[0,0,1]
	;; [unrolled: 2-line block ×3, first 2 shown]
	v_mov_b32_e32 v59, v97
	v_mov_b32_e32 v49, v71
	;; [unrolled: 1-line block ×3, first 2 shown]
	v_pk_add_f32 v[46:47], v[46:47], v[58:59]
	v_pk_fma_f32 v[58:59], v[38:39], s[14:15], v[104:105] neg_lo:[0,0,1] neg_hi:[0,0,1]
	v_pk_add_f32 v[44:45], v[44:45], v[48:49]
	v_pk_fma_f32 v[48:49], v[38:39], s[22:23], v[78:79] neg_lo:[0,0,1] neg_hi:[0,0,1]
	;; [unrolled: 2-line block ×3, first 2 shown]
	v_mov_b32_e32 v59, v107
	v_mov_b32_e32 v49, v77
	;; [unrolled: 1-line block ×3, first 2 shown]
	v_pk_add_f32 v[46:47], v[46:47], v[58:59]
	v_pk_add_f32 v[44:45], v[44:45], v[48:49]
	;; [unrolled: 1-line block ×3, first 2 shown]
	ds_write2_b64 v5, v[46:47], v[44:45] offset0:10 offset1:11
	ds_write_b64 v5, v[6:7] offset:96
.LBB0_14:
	s_or_b64 exec, exec, s[2:3]
	s_waitcnt lgkmcnt(0)
	s_barrier
	s_and_saveexec_b64 s[0:1], vcc
	s_cbranch_execz .LBB0_16
; %bb.15:
	v_mul_u32_u24_e32 v5, 10, v0
	v_lshlrev_b32_e32 v5, 3, v5
	global_load_dwordx4 v[6:9], v5, s[4:5] offset:64
	global_load_dwordx4 v[10:13], v5, s[4:5]
	global_load_dwordx4 v[14:17], v5, s[4:5] offset:48
	global_load_dwordx4 v[18:21], v5, s[4:5] offset:16
	;; [unrolled: 1-line block ×3, first 2 shown]
	v_lshlrev_b32_e32 v0, 3, v0
	v_mov_b32_e32 v5, 0
	v_lshl_add_u64 v[2:3], v[2:3], 3, s[8:9]
	v_add3_u32 v42, 0, v0, v1
	s_waitcnt vmcnt(15)
	v_add3_u32 v30, 0, v1, v0
	v_lshl_add_u64 v[0:1], v[4:5], 3, v[2:3]
	s_waitcnt vmcnt(10)
	ds_read2_b64 v[26:29], v42 offset0:13 offset1:26
	ds_read_b64 v[2:3], v30
	ds_read2_b64 v[30:33], v42 offset0:39 offset1:52
	ds_read2_b64 v[34:37], v42 offset0:117 offset1:130
	;; [unrolled: 1-line block ×4, first 2 shown]
	s_waitcnt lgkmcnt(5)
	v_mov_b32_e32 v4, v29
	s_mov_b32 s6, 0xbf0a6770
	s_mov_b32 s0, 0x3f575c64
	;; [unrolled: 1-line block ×12, first 2 shown]
	s_waitcnt vmcnt(4)
	v_mov_b32_e32 v46, v9
	s_waitcnt lgkmcnt(2)
	v_pk_mul_f32 v[48:49], v[34:35], v[6:7] op_sel:[0,1]
	s_waitcnt vmcnt(3)
	v_pk_mul_f32 v[64:65], v[10:11], v[26:27] op_sel:[0,1]
	v_pk_mul_f32 v[46:47], v[36:37], v[46:47] op_sel_hi:[1,0]
	s_waitcnt vmcnt(0) lgkmcnt(1)
	v_pk_mul_f32 v[62:63], v[22:23], v[38:39] op_sel:[0,1]
	v_mov_b32_e32 v50, v13
	v_mov_b32_e32 v51, v12
	v_pk_mul_f32 v[12:13], v[12:13], v[28:29] op_sel_hi:[1,0]
	v_pk_mul_f32 v[54:55], v[18:19], v[30:31] op_sel:[0,1]
	v_pk_fma_f32 v[66:67], v[6:7], v[34:35], v[48:49] op_sel:[0,0,1] op_sel_hi:[1,1,0]
	v_pk_fma_f32 v[6:7], v[6:7], v[34:35], v[48:49] op_sel:[0,0,1] op_sel_hi:[0,1,0] neg_lo:[0,0,1] neg_hi:[0,0,1]
	v_pk_fma_f32 v[48:49], v[22:23], v[38:39], v[62:63] op_sel:[0,0,1] op_sel_hi:[1,1,0]
	v_pk_fma_f32 v[22:23], v[22:23], v[38:39], v[62:63] op_sel:[0,0,1] op_sel_hi:[1,0,0] neg_lo:[1,0,0] neg_hi:[1,0,0]
	;; [unrolled: 2-line block ×4, first 2 shown]
	v_mov_b32_e32 v52, v17
	s_waitcnt lgkmcnt(0)
	v_pk_mul_f32 v[56:57], v[42:43], v[14:15] op_sel:[0,1]
	v_pk_mul_f32 v[58:59], v[20:21], v[32:33] op_sel:[0,1]
	v_mov_b32_e32 v60, v25
	v_pk_fma_f32 v[4:5], v[50:51], v[4:5], v[12:13]
	v_pk_fma_f32 v[12:13], v[50:51], v[28:29], v[12:13] op_sel:[0,1,0] neg_lo:[0,0,1] neg_hi:[0,0,1]
	v_pk_fma_f32 v[34:35], v[18:19], v[30:31], v[54:55] op_sel:[0,0,1] op_sel_hi:[1,1,0]
	v_pk_fma_f32 v[18:19], v[18:19], v[30:31], v[54:55] op_sel:[0,0,1] op_sel_hi:[1,0,0] neg_lo:[1,0,0] neg_hi:[1,0,0]
	v_mov_b32_e32 v39, v11
	v_mov_b32_e32 v27, v9
	v_pk_mul_f32 v[28:29], v[44:45], v[52:53] op_sel_hi:[1,0]
	v_pk_fma_f32 v[30:31], v[14:15], v[42:43], v[56:57] op_sel:[0,0,1] op_sel_hi:[1,1,0]
	v_pk_fma_f32 v[14:15], v[14:15], v[42:43], v[56:57] op_sel:[0,0,1] op_sel_hi:[0,1,0] neg_lo:[0,0,1] neg_hi:[0,0,1]
	v_pk_fma_f32 v[42:43], v[20:21], v[32:33], v[58:59] op_sel:[0,0,1] op_sel_hi:[1,1,0]
	v_pk_fma_f32 v[20:21], v[20:21], v[32:33], v[58:59] op_sel:[0,0,1] op_sel_hi:[1,0,0] neg_lo:[1,0,0] neg_hi:[1,0,0]
	v_pk_mul_f32 v[32:33], v[40:41], v[60:61] op_sel_hi:[1,0]
	v_mov_b32_e32 v67, v7
	v_mov_b32_e32 v5, v13
	;; [unrolled: 1-line block ×3, first 2 shown]
	v_pk_add_f32 v[18:19], v[38:39], v[26:27] neg_lo:[0,1] neg_hi:[0,1]
	v_pk_fma_f32 v[6:7], v[16:17], v[44:45], v[28:29] op_sel:[0,0,1] op_sel_hi:[1,1,0]
	v_pk_fma_f32 v[12:13], v[16:17], v[44:45], v[28:29] op_sel:[0,0,1] op_sel_hi:[0,1,0] neg_lo:[0,0,1] neg_hi:[0,0,1]
	v_mov_b32_e32 v31, v15
	v_mov_b32_e32 v43, v21
	v_pk_fma_f32 v[14:15], v[24:25], v[40:41], v[32:33] op_sel:[0,0,1] op_sel_hi:[1,1,0]
	v_pk_fma_f32 v[16:17], v[24:25], v[40:41], v[32:33] op_sel:[0,0,1] op_sel_hi:[0,1,0] neg_lo:[0,0,1] neg_hi:[0,0,1]
	v_pk_add_f32 v[8:9], v[4:5], v[66:67] neg_lo:[0,1] neg_hi:[0,1]
	v_pk_add_f32 v[20:21], v[38:39], v[26:27]
	v_pk_mul_f32 v[40:41], v[18:19], s[6:7] op_sel_hi:[1,0]
	v_pk_add_f32 v[10:11], v[4:5], v[66:67]
	v_pk_mul_f32 v[36:37], v[8:9], s[16:17] op_sel_hi:[1,0]
	v_pk_fma_f32 v[46:47], v[20:21], s[0:1], v[40:41] op_sel:[0,0,1] op_sel_hi:[1,0,0]
	v_pk_fma_f32 v[40:41], v[20:21], s[0:1], v[40:41] op_sel:[0,0,1] op_sel_hi:[1,0,0] neg_lo:[0,0,1] neg_hi:[0,0,1]
	v_mov_b32_e32 v7, v13
	v_pk_fma_f32 v[44:45], v[10:11], s[2:3], v[36:37] op_sel:[0,0,1] op_sel_hi:[1,0,0]
	v_pk_fma_f32 v[36:37], v[10:11], s[2:3], v[36:37] op_sel:[0,0,1] op_sel_hi:[1,0,0] neg_lo:[0,0,1] neg_hi:[0,0,1]
	v_mov_b32_e32 v52, v46
	v_mov_b32_e32 v53, v41
	;; [unrolled: 1-line block ×3, first 2 shown]
	v_pk_add_f32 v[22:23], v[34:35], v[6:7] neg_lo:[0,1] neg_hi:[0,1]
	v_mov_b32_e32 v50, v44
	v_mov_b32_e32 v51, v37
	v_pk_add_f32 v[52:53], v[52:53], v[2:3]
	v_pk_add_f32 v[38:39], v[38:39], v[2:3]
	;; [unrolled: 1-line block ×4, first 2 shown]
	v_pk_mul_f32 v[52:53], v[22:23], s[10:11] op_sel_hi:[1,0]
	v_pk_add_f32 v[4:5], v[38:39], v[4:5]
	v_pk_fma_f32 v[54:55], v[24:25], s[4:5], v[52:53] op_sel:[0,0,1] op_sel_hi:[1,0,0]
	v_pk_fma_f32 v[52:53], v[24:25], s[4:5], v[52:53] op_sel:[0,0,1] op_sel_hi:[1,0,0] neg_lo:[0,0,1] neg_hi:[0,0,1]
	v_pk_add_f32 v[4:5], v[4:5], v[34:35]
	v_pk_add_f32 v[12:13], v[42:43], v[30:31] neg_lo:[0,1] neg_hi:[0,1]
	v_mov_b32_e32 v56, v54
	v_mov_b32_e32 v57, v53
	v_pk_add_f32 v[4:5], v[4:5], v[42:43]
	v_mov_b32_e32 v15, v17
	v_pk_add_f32 v[16:17], v[42:43], v[30:31]
	v_pk_add_f32 v[50:51], v[50:51], v[56:57]
	v_pk_mul_f32 v[56:57], v[12:13], s[12:13] op_sel_hi:[1,0]
	v_pk_add_f32 v[4:5], v[4:5], v[48:49]
	v_pk_fma_f32 v[58:59], v[16:17], s[8:9], v[56:57] op_sel:[0,0,1] op_sel_hi:[1,0,0]
	v_pk_fma_f32 v[56:57], v[16:17], s[8:9], v[56:57] op_sel:[0,0,1] op_sel_hi:[1,0,0] neg_lo:[0,0,1] neg_hi:[0,0,1]
	v_pk_add_f32 v[4:5], v[4:5], v[14:15]
	v_pk_add_f32 v[28:29], v[48:49], v[14:15] neg_lo:[0,1] neg_hi:[0,1]
	v_mov_b32_e32 v60, v58
	v_mov_b32_e32 v61, v57
	v_pk_add_f32 v[4:5], v[30:31], v[4:5]
	v_pk_add_f32 v[32:33], v[48:49], v[14:15]
	;; [unrolled: 1-line block ×3, first 2 shown]
	v_pk_mul_f32 v[60:61], v[28:29], s[18:19] op_sel_hi:[1,0]
	v_pk_add_f32 v[4:5], v[6:7], v[4:5]
	v_pk_fma_f32 v[62:63], v[32:33], s[14:15], v[60:61] op_sel:[0,0,1] op_sel_hi:[1,0,0]
	v_pk_fma_f32 v[60:61], v[32:33], s[14:15], v[60:61] op_sel:[0,0,1] op_sel_hi:[1,0,0] neg_lo:[0,0,1] neg_hi:[0,0,1]
	v_pk_add_f32 v[4:5], v[66:67], v[4:5]
	v_mov_b32_e32 v64, v62
	v_mov_b32_e32 v65, v61
	v_pk_add_f32 v[4:5], v[26:27], v[4:5]
	v_pk_add_f32 v[50:51], v[50:51], v[64:65]
	global_store_dwordx2 v[0:1], v[4:5], off
	global_store_dwordx2 v[0:1], v[50:51], off offset:104
	v_pk_mul_f32 v[4:5], v[18:19], s[16:17] op_sel_hi:[1,0]
	v_pk_mul_f32 v[26:27], v[8:9], s[12:13] op_sel_hi:[1,0]
	v_pk_fma_f32 v[6:7], v[20:21], s[2:3], v[4:5] op_sel:[0,0,1] op_sel_hi:[1,0,0]
	v_pk_fma_f32 v[4:5], v[20:21], s[2:3], v[4:5] op_sel:[0,0,1] op_sel_hi:[1,0,0] neg_lo:[0,0,1] neg_hi:[0,0,1]
	v_mov_b32_e32 v14, v6
	v_mov_b32_e32 v15, v5
	v_pk_fma_f32 v[30:31], v[10:11], s[8:9], v[26:27] op_sel:[0,0,1] op_sel_hi:[1,0,0]
	v_pk_fma_f32 v[26:27], v[10:11], s[8:9], v[26:27] op_sel:[0,0,1] op_sel_hi:[1,0,0] neg_lo:[0,0,1] neg_hi:[0,0,1]
	v_pk_add_f32 v[14:15], v[14:15], v[2:3]
	v_mov_b32_e32 v34, v30
	v_mov_b32_e32 v35, v27
	s_mov_b32 s16, 0x3e903f40
	v_pk_add_f32 v[14:15], v[14:15], v[34:35]
	v_pk_mul_f32 v[34:35], v[22:23], s[16:17] op_sel_hi:[1,0]
	v_pk_mul_f32 v[70:71], v[8:9], s[16:17] op_sel_hi:[1,0]
	v_pk_fma_f32 v[38:39], v[24:25], s[14:15], v[34:35] op_sel:[0,0,1] op_sel_hi:[1,0,0]
	v_pk_fma_f32 v[34:35], v[24:25], s[14:15], v[34:35] op_sel:[0,0,1] op_sel_hi:[1,0,0] neg_lo:[0,0,1] neg_hi:[0,0,1]
	v_mov_b32_e32 v42, v38
	v_mov_b32_e32 v43, v35
	v_pk_add_f32 v[14:15], v[14:15], v[42:43]
	v_pk_mul_f32 v[42:43], v[12:13], s[20:21] op_sel_hi:[1,0]
	v_pk_fma_f32 v[72:73], v[10:11], s[14:15], v[70:71] op_sel:[0,0,1] op_sel_hi:[1,0,0]
	v_pk_fma_f32 v[48:49], v[16:17], s[4:5], v[42:43] op_sel:[0,0,1] op_sel_hi:[1,0,0]
	v_pk_fma_f32 v[42:43], v[16:17], s[4:5], v[42:43] op_sel:[0,0,1] op_sel_hi:[1,0,0] neg_lo:[0,0,1] neg_hi:[0,0,1]
	v_mov_b32_e32 v50, v48
	v_mov_b32_e32 v51, v43
	v_pk_add_f32 v[14:15], v[14:15], v[50:51]
	v_pk_mul_f32 v[50:51], v[28:29], s[22:23] op_sel_hi:[1,0]
	v_pk_fma_f32 v[70:71], v[10:11], s[14:15], v[70:71] op_sel:[0,0,1] op_sel_hi:[1,0,0] neg_lo:[0,0,1] neg_hi:[0,0,1]
	v_pk_fma_f32 v[64:65], v[32:33], s[0:1], v[50:51] op_sel:[0,0,1] op_sel_hi:[1,0,0]
	v_pk_fma_f32 v[50:51], v[32:33], s[0:1], v[50:51] op_sel:[0,0,1] op_sel_hi:[1,0,0] neg_lo:[0,0,1] neg_hi:[0,0,1]
	v_mov_b32_e32 v66, v64
	v_mov_b32_e32 v67, v51
	v_pk_add_f32 v[14:15], v[14:15], v[66:67]
	global_store_dwordx2 v[0:1], v[14:15], off offset:208
	v_pk_mul_f32 v[14:15], v[18:19], s[10:11] op_sel_hi:[1,0]
	v_mov_b32_e32 v74, v72
	v_pk_fma_f32 v[66:67], v[20:21], s[4:5], v[14:15] op_sel:[0,0,1] op_sel_hi:[1,0,0]
	v_pk_fma_f32 v[14:15], v[20:21], s[4:5], v[14:15] op_sel:[0,0,1] op_sel_hi:[1,0,0] neg_lo:[0,0,1] neg_hi:[0,0,1]
	v_mov_b32_e32 v68, v66
	v_mov_b32_e32 v69, v15
	v_pk_add_f32 v[68:69], v[68:69], v[2:3]
	v_mov_b32_e32 v75, v71
	s_mov_b32 s16, 0x3f68dda4
	v_pk_add_f32 v[68:69], v[68:69], v[74:75]
	v_pk_mul_f32 v[74:75], v[22:23], s[16:17] op_sel_hi:[1,0]
	v_pk_mul_f32 v[90:91], v[8:9], s[20:21] op_sel_hi:[1,0]
	v_pk_fma_f32 v[76:77], v[24:25], s[2:3], v[74:75] op_sel:[0,0,1] op_sel_hi:[1,0,0]
	v_pk_fma_f32 v[74:75], v[24:25], s[2:3], v[74:75] op_sel:[0,0,1] op_sel_hi:[1,0,0] neg_lo:[0,0,1] neg_hi:[0,0,1]
	v_mov_b32_e32 v78, v76
	v_mov_b32_e32 v79, v75
	v_pk_add_f32 v[68:69], v[68:69], v[78:79]
	v_pk_mul_f32 v[78:79], v[12:13], s[6:7] op_sel_hi:[1,0]
	v_pk_fma_f32 v[92:93], v[10:11], s[4:5], v[90:91] op_sel:[0,0,1] op_sel_hi:[1,0,0]
	v_pk_fma_f32 v[80:81], v[16:17], s[0:1], v[78:79] op_sel:[0,0,1] op_sel_hi:[1,0,0]
	v_pk_fma_f32 v[78:79], v[16:17], s[0:1], v[78:79] op_sel:[0,0,1] op_sel_hi:[1,0,0] neg_lo:[0,0,1] neg_hi:[0,0,1]
	v_mov_b32_e32 v82, v80
	v_mov_b32_e32 v83, v79
	v_pk_add_f32 v[68:69], v[68:69], v[82:83]
	v_pk_mul_f32 v[82:83], v[28:29], s[12:13] op_sel_hi:[1,0]
	v_pk_fma_f32 v[90:91], v[10:11], s[4:5], v[90:91] op_sel:[0,0,1] op_sel_hi:[1,0,0] neg_lo:[0,0,1] neg_hi:[0,0,1]
	v_pk_fma_f32 v[84:85], v[32:33], s[8:9], v[82:83] op_sel:[0,0,1] op_sel_hi:[1,0,0]
	v_pk_fma_f32 v[82:83], v[32:33], s[8:9], v[82:83] op_sel:[0,0,1] op_sel_hi:[1,0,0] neg_lo:[0,0,1] neg_hi:[0,0,1]
	v_mov_b32_e32 v86, v84
	v_mov_b32_e32 v87, v83
	v_pk_add_f32 v[68:69], v[68:69], v[86:87]
	global_store_dwordx2 v[0:1], v[68:69], off offset:312
	v_pk_mul_f32 v[68:69], v[18:19], s[12:13] op_sel_hi:[1,0]
	v_mov_b32_e32 v94, v92
	v_pk_fma_f32 v[86:87], v[20:21], s[8:9], v[68:69] op_sel:[0,0,1] op_sel_hi:[1,0,0]
	v_pk_fma_f32 v[68:69], v[20:21], s[8:9], v[68:69] op_sel:[0,0,1] op_sel_hi:[1,0,0] neg_lo:[0,0,1] neg_hi:[0,0,1]
	v_mov_b32_e32 v88, v86
	v_mov_b32_e32 v89, v69
	v_pk_add_f32 v[88:89], v[88:89], v[2:3]
	v_mov_b32_e32 v95, v91
	v_pk_add_f32 v[88:89], v[88:89], v[94:95]
	v_pk_mul_f32 v[94:95], v[22:23], s[6:7] op_sel_hi:[1,0]
	v_pk_mul_f32 v[18:19], v[18:19], s[18:19] op_sel_hi:[1,0]
	v_pk_fma_f32 v[96:97], v[24:25], s[0:1], v[94:95] op_sel:[0,0,1] op_sel_hi:[1,0,0]
	v_pk_fma_f32 v[94:95], v[24:25], s[0:1], v[94:95] op_sel:[0,0,1] op_sel_hi:[1,0,0] neg_lo:[0,0,1] neg_hi:[0,0,1]
	v_mov_b32_e32 v98, v96
	v_mov_b32_e32 v99, v95
	v_pk_add_f32 v[88:89], v[88:89], v[98:99]
	v_pk_mul_f32 v[98:99], v[12:13], s[18:19] op_sel_hi:[1,0]
	v_pk_mul_f32 v[8:9], v[8:9], s[22:23] op_sel_hi:[1,0]
	v_pk_fma_f32 v[100:101], v[16:17], s[14:15], v[98:99] op_sel:[0,0,1] op_sel_hi:[1,0,0]
	v_pk_fma_f32 v[98:99], v[16:17], s[14:15], v[98:99] op_sel:[0,0,1] op_sel_hi:[1,0,0] neg_lo:[0,0,1] neg_hi:[0,0,1]
	v_mov_b32_e32 v102, v100
	;; [unrolled: 7-line block ×3, first 2 shown]
	v_mov_b32_e32 v107, v103
	v_pk_add_f32 v[88:89], v[88:89], v[106:107]
	global_store_dwordx2 v[0:1], v[88:89], off offset:416
	v_pk_fma_f32 v[88:89], v[20:21], s[14:15], v[18:19] op_sel:[0,0,1] op_sel_hi:[1,0,0]
	v_pk_fma_f32 v[18:19], v[20:21], s[14:15], v[18:19] op_sel:[0,0,1] op_sel_hi:[1,0,0] neg_lo:[0,0,1] neg_hi:[0,0,1]
	v_mov_b32_e32 v20, v88
	v_mov_b32_e32 v21, v19
	v_pk_fma_f32 v[106:107], v[10:11], s[0:1], v[8:9] op_sel:[0,0,1] op_sel_hi:[1,0,0]
	v_pk_fma_f32 v[8:9], v[10:11], s[0:1], v[8:9] op_sel:[0,0,1] op_sel_hi:[1,0,0] neg_lo:[0,0,1] neg_hi:[0,0,1]
	v_pk_add_f32 v[20:21], v[20:21], v[2:3]
	v_mov_b32_e32 v10, v106
	v_mov_b32_e32 v11, v9
	v_pk_add_f32 v[10:11], v[20:21], v[10:11]
	v_pk_fma_f32 v[20:21], v[24:25], s[8:9], v[22:23] op_sel:[0,0,1] op_sel_hi:[1,0,0]
	v_pk_fma_f32 v[22:23], v[24:25], s[8:9], v[22:23] op_sel:[0,0,1] op_sel_hi:[1,0,0] neg_lo:[0,0,1] neg_hi:[0,0,1]
	v_pk_mul_f32 v[12:13], v[12:13], s[16:17] op_sel_hi:[1,0]
	v_mov_b32_e32 v24, v20
	v_mov_b32_e32 v25, v23
	v_pk_add_f32 v[10:11], v[10:11], v[24:25]
	v_pk_fma_f32 v[24:25], v[16:17], s[2:3], v[12:13] op_sel:[0,0,1] op_sel_hi:[1,0,0]
	v_pk_fma_f32 v[12:13], v[16:17], s[2:3], v[12:13] op_sel:[0,0,1] op_sel_hi:[1,0,0] neg_lo:[0,0,1] neg_hi:[0,0,1]
	v_pk_mul_f32 v[28:29], v[28:29], s[10:11] op_sel_hi:[1,0]
	v_mov_b32_e32 v16, v24
	v_mov_b32_e32 v17, v13
	v_pk_add_f32 v[10:11], v[10:11], v[16:17]
	v_pk_fma_f32 v[16:17], v[32:33], s[4:5], v[28:29] op_sel:[0,0,1] op_sel_hi:[1,0,0]
	v_pk_fma_f32 v[28:29], v[32:33], s[4:5], v[28:29] op_sel:[0,0,1] op_sel_hi:[1,0,0] neg_lo:[0,0,1] neg_hi:[0,0,1]
	v_mov_b32_e32 v32, v16
	v_mov_b32_e32 v33, v29
	v_pk_add_f32 v[10:11], v[10:11], v[32:33]
	v_mov_b32_e32 v19, v89
	global_store_dwordx2 v[0:1], v[10:11], off offset:520
	v_pk_add_f32 v[10:11], v[18:19], v[2:3]
	v_mov_b32_e32 v9, v107
	v_pk_add_f32 v[8:9], v[10:11], v[8:9]
	v_mov_b32_e32 v23, v21
	;; [unrolled: 2-line block ×5, first 2 shown]
	global_store_dwordx2 v[0:1], v[8:9], off offset:624
	v_pk_add_f32 v[8:9], v[68:69], v[2:3]
	v_mov_b32_e32 v91, v93
	v_pk_add_f32 v[8:9], v[8:9], v[90:91]
	v_mov_b32_e32 v95, v97
	;; [unrolled: 2-line block ×5, first 2 shown]
	v_mov_b32_e32 v5, v7
	v_mov_b32_e32 v41, v47
	global_store_dwordx2 v[0:1], v[8:9], off offset:728
	v_pk_add_f32 v[8:9], v[14:15], v[2:3]
	v_mov_b32_e32 v71, v73
	v_pk_add_f32 v[4:5], v[4:5], v[2:3]
	v_mov_b32_e32 v27, v31
	;; [unrolled: 2-line block ×12, first 2 shown]
	v_pk_add_f32 v[8:9], v[8:9], v[82:83]
	v_pk_add_f32 v[4:5], v[4:5], v[50:51]
	;; [unrolled: 1-line block ×3, first 2 shown]
	global_store_dwordx2 v[0:1], v[8:9], off offset:832
	global_store_dwordx2 v[0:1], v[4:5], off offset:936
	;; [unrolled: 1-line block ×3, first 2 shown]
.LBB0_16:
	s_endpgm
	.section	.rodata,"a",@progbits
	.p2align	6, 0x0
	.amdhsa_kernel fft_rtc_back_len143_factors_13_11_wgs_182_tpt_13_sp_ip_CI_unitstride_sbrr_dirReg
		.amdhsa_group_segment_fixed_size 0
		.amdhsa_private_segment_fixed_size 0
		.amdhsa_kernarg_size 88
		.amdhsa_user_sgpr_count 2
		.amdhsa_user_sgpr_dispatch_ptr 0
		.amdhsa_user_sgpr_queue_ptr 0
		.amdhsa_user_sgpr_kernarg_segment_ptr 1
		.amdhsa_user_sgpr_dispatch_id 0
		.amdhsa_user_sgpr_kernarg_preload_length 0
		.amdhsa_user_sgpr_kernarg_preload_offset 0
		.amdhsa_user_sgpr_private_segment_size 0
		.amdhsa_uses_dynamic_stack 0
		.amdhsa_enable_private_segment 0
		.amdhsa_system_sgpr_workgroup_id_x 1
		.amdhsa_system_sgpr_workgroup_id_y 0
		.amdhsa_system_sgpr_workgroup_id_z 0
		.amdhsa_system_sgpr_workgroup_info 0
		.amdhsa_system_vgpr_workitem_id 0
		.amdhsa_next_free_vgpr 168
		.amdhsa_next_free_sgpr 48
		.amdhsa_accum_offset 168
		.amdhsa_reserve_vcc 1
		.amdhsa_float_round_mode_32 0
		.amdhsa_float_round_mode_16_64 0
		.amdhsa_float_denorm_mode_32 3
		.amdhsa_float_denorm_mode_16_64 3
		.amdhsa_dx10_clamp 1
		.amdhsa_ieee_mode 1
		.amdhsa_fp16_overflow 0
		.amdhsa_tg_split 0
		.amdhsa_exception_fp_ieee_invalid_op 0
		.amdhsa_exception_fp_denorm_src 0
		.amdhsa_exception_fp_ieee_div_zero 0
		.amdhsa_exception_fp_ieee_overflow 0
		.amdhsa_exception_fp_ieee_underflow 0
		.amdhsa_exception_fp_ieee_inexact 0
		.amdhsa_exception_int_div_zero 0
	.end_amdhsa_kernel
	.text
.Lfunc_end0:
	.size	fft_rtc_back_len143_factors_13_11_wgs_182_tpt_13_sp_ip_CI_unitstride_sbrr_dirReg, .Lfunc_end0-fft_rtc_back_len143_factors_13_11_wgs_182_tpt_13_sp_ip_CI_unitstride_sbrr_dirReg
                                        ; -- End function
	.section	.AMDGPU.csdata,"",@progbits
; Kernel info:
; codeLenInByte = 6212
; NumSgprs: 54
; NumVgprs: 168
; NumAgprs: 0
; TotalNumVgprs: 168
; ScratchSize: 0
; MemoryBound: 0
; FloatMode: 240
; IeeeMode: 1
; LDSByteSize: 0 bytes/workgroup (compile time only)
; SGPRBlocks: 6
; VGPRBlocks: 20
; NumSGPRsForWavesPerEU: 54
; NumVGPRsForWavesPerEU: 168
; AccumOffset: 168
; Occupancy: 3
; WaveLimiterHint : 1
; COMPUTE_PGM_RSRC2:SCRATCH_EN: 0
; COMPUTE_PGM_RSRC2:USER_SGPR: 2
; COMPUTE_PGM_RSRC2:TRAP_HANDLER: 0
; COMPUTE_PGM_RSRC2:TGID_X_EN: 1
; COMPUTE_PGM_RSRC2:TGID_Y_EN: 0
; COMPUTE_PGM_RSRC2:TGID_Z_EN: 0
; COMPUTE_PGM_RSRC2:TIDIG_COMP_CNT: 0
; COMPUTE_PGM_RSRC3_GFX90A:ACCUM_OFFSET: 41
; COMPUTE_PGM_RSRC3_GFX90A:TG_SPLIT: 0
	.text
	.p2alignl 6, 3212836864
	.fill 256, 4, 3212836864
	.type	__hip_cuid_664cb7f19ce351f,@object ; @__hip_cuid_664cb7f19ce351f
	.section	.bss,"aw",@nobits
	.globl	__hip_cuid_664cb7f19ce351f
__hip_cuid_664cb7f19ce351f:
	.byte	0                               ; 0x0
	.size	__hip_cuid_664cb7f19ce351f, 1

	.ident	"AMD clang version 19.0.0git (https://github.com/RadeonOpenCompute/llvm-project roc-6.4.0 25133 c7fe45cf4b819c5991fe208aaa96edf142730f1d)"
	.section	".note.GNU-stack","",@progbits
	.addrsig
	.addrsig_sym __hip_cuid_664cb7f19ce351f
	.amdgpu_metadata
---
amdhsa.kernels:
  - .agpr_count:     0
    .args:
      - .actual_access:  read_only
        .address_space:  global
        .offset:         0
        .size:           8
        .value_kind:     global_buffer
      - .offset:         8
        .size:           8
        .value_kind:     by_value
      - .actual_access:  read_only
        .address_space:  global
        .offset:         16
        .size:           8
        .value_kind:     global_buffer
      - .actual_access:  read_only
        .address_space:  global
        .offset:         24
        .size:           8
        .value_kind:     global_buffer
      - .offset:         32
        .size:           8
        .value_kind:     by_value
      - .actual_access:  read_only
        .address_space:  global
        .offset:         40
        .size:           8
        .value_kind:     global_buffer
      - .actual_access:  read_only
        .address_space:  global
        .offset:         48
        .size:           8
        .value_kind:     global_buffer
      - .offset:         56
        .size:           4
        .value_kind:     by_value
      - .actual_access:  read_only
        .address_space:  global
        .offset:         64
        .size:           8
        .value_kind:     global_buffer
      - .actual_access:  read_only
        .address_space:  global
        .offset:         72
        .size:           8
        .value_kind:     global_buffer
      - .address_space:  global
        .offset:         80
        .size:           8
        .value_kind:     global_buffer
    .group_segment_fixed_size: 0
    .kernarg_segment_align: 8
    .kernarg_segment_size: 88
    .language:       OpenCL C
    .language_version:
      - 2
      - 0
    .max_flat_workgroup_size: 182
    .name:           fft_rtc_back_len143_factors_13_11_wgs_182_tpt_13_sp_ip_CI_unitstride_sbrr_dirReg
    .private_segment_fixed_size: 0
    .sgpr_count:     54
    .sgpr_spill_count: 0
    .symbol:         fft_rtc_back_len143_factors_13_11_wgs_182_tpt_13_sp_ip_CI_unitstride_sbrr_dirReg.kd
    .uniform_work_group_size: 1
    .uses_dynamic_stack: false
    .vgpr_count:     168
    .vgpr_spill_count: 0
    .wavefront_size: 64
amdhsa.target:   amdgcn-amd-amdhsa--gfx950
amdhsa.version:
  - 1
  - 2
...

	.end_amdgpu_metadata
